;; amdgpu-corpus repo=ROCm/rocFFT kind=compiled arch=gfx1030 opt=O3
	.text
	.amdgcn_target "amdgcn-amd-amdhsa--gfx1030"
	.amdhsa_code_object_version 6
	.protected	bluestein_single_fwd_len1715_dim1_dp_op_CI_CI ; -- Begin function bluestein_single_fwd_len1715_dim1_dp_op_CI_CI
	.globl	bluestein_single_fwd_len1715_dim1_dp_op_CI_CI
	.p2align	8
	.type	bluestein_single_fwd_len1715_dim1_dp_op_CI_CI,@function
bluestein_single_fwd_len1715_dim1_dp_op_CI_CI: ; @bluestein_single_fwd_len1715_dim1_dp_op_CI_CI
; %bb.0:
	s_load_dwordx4 s[12:15], s[4:5], 0x28
	v_mul_u32_u24_e32 v1, 0x10c, v0
	v_mov_b32_e32 v133, 0
	s_mov_b32 s0, exec_lo
	v_lshrrev_b32_e32 v1, 16, v1
	v_add_nc_u32_e32 v132, s6, v1
	s_waitcnt lgkmcnt(0)
	v_cmpx_gt_u64_e64 s[12:13], v[132:133]
	s_cbranch_execz .LBB0_15
; %bb.1:
	s_clause 0x1
	s_load_dwordx4 s[8:11], s[4:5], 0x18
	s_load_dwordx2 s[6:7], s[4:5], 0x0
	v_mul_lo_u16 v1, 0xf5, v1
	v_sub_nc_u16 v62, v0, v1
	v_and_b32_e32 v136, 0xffff, v62
	v_lshlrev_b32_e32 v133, 4, v136
	s_waitcnt lgkmcnt(0)
	s_load_dwordx4 s[0:3], s[8:9], 0x0
	global_load_dwordx4 v[0:3], v133, s[6:7]
	s_waitcnt lgkmcnt(0)
	v_mad_u64_u32 v[4:5], null, s2, v132, 0
	v_mad_u64_u32 v[6:7], null, s0, v136, 0
	v_add_co_u32 v134, s2, s6, v133
	v_add_co_ci_u32_e64 v135, null, s7, 0, s2
	s_mul_hi_u32 s6, s0, 0x157
	v_add_co_u32 v8, vcc_lo, 0x1000, v134
	v_mad_u64_u32 v[10:11], null, s3, v132, v[5:6]
	v_add_co_ci_u32_e32 v9, vcc_lo, 0, v135, vcc_lo
	v_mad_u64_u32 v[13:14], null, s1, v136, v[7:8]
	v_add_co_u32 v11, vcc_lo, 0x2800, v134
	v_mov_b32_e32 v5, v10
	v_add_co_ci_u32_e32 v12, vcc_lo, 0, v135, vcc_lo
	v_add_co_u32 v14, vcc_lo, 0x4000, v134
	v_mov_b32_e32 v7, v13
	v_lshlrev_b64 v[4:5], 4, v[4:5]
	v_add_co_ci_u32_e32 v15, vcc_lo, 0, v135, vcc_lo
	v_add_co_u32 v16, vcc_lo, 0x5000, v134
	v_add_co_ci_u32_e32 v17, vcc_lo, 0, v135, vcc_lo
	v_lshlrev_b64 v[6:7], 4, v[6:7]
	v_add_co_u32 v4, vcc_lo, s14, v4
	v_add_co_ci_u32_e32 v5, vcc_lo, s15, v5, vcc_lo
	s_mul_i32 s3, s1, 0x157
	v_add_co_u32 v18, vcc_lo, v4, v6
	s_mul_i32 s2, s0, 0x157
	s_add_i32 s3, s6, s3
	v_add_co_ci_u32_e32 v19, vcc_lo, v5, v7, vcc_lo
	s_lshl_b64 s[6:7], s[2:3], 4
	global_load_dwordx4 v[4:7], v[8:9], off offset:1392
	v_add_co_u32 v20, vcc_lo, v18, s6
	v_add_co_ci_u32_e32 v21, vcc_lo, s7, v19, vcc_lo
	global_load_dwordx4 v[8:11], v[11:12], off offset:736
	v_add_co_u32 v30, vcc_lo, v20, s6
	v_add_co_ci_u32_e32 v31, vcc_lo, s7, v21, vcc_lo
	s_clause 0x1
	global_load_dwordx4 v[22:25], v[18:19], off
	global_load_dwordx4 v[26:29], v[20:21], off
	v_add_co_u32 v12, vcc_lo, v30, s6
	v_add_co_ci_u32_e32 v13, vcc_lo, s7, v31, vcc_lo
	v_add_co_u32 v20, vcc_lo, v12, s6
	v_add_co_ci_u32_e32 v21, vcc_lo, s7, v13, vcc_lo
	s_clause 0x1
	global_load_dwordx4 v[30:33], v[30:31], off
	global_load_dwordx4 v[34:37], v[12:13], off
	s_clause 0x1
	global_load_dwordx4 v[12:15], v[14:15], off offset:80
	global_load_dwordx4 v[16:19], v[16:17], off offset:1472
	global_load_dwordx4 v[38:41], v[20:21], off
	s_load_dwordx2 s[2:3], s[4:5], 0x38
	s_load_dwordx4 s[8:11], s[10:11], 0x0
	v_cmp_gt_u16_e32 vcc_lo, 0x62, v62
	s_waitcnt vmcnt(6)
	v_mul_f64 v[42:43], v[24:25], v[2:3]
	v_mul_f64 v[44:45], v[22:23], v[2:3]
	s_waitcnt vmcnt(5)
	v_mul_f64 v[46:47], v[28:29], v[6:7]
	v_mul_f64 v[48:49], v[26:27], v[6:7]
	;; [unrolled: 3-line block ×5, first 2 shown]
	v_fma_f64 v[22:23], v[22:23], v[0:1], v[42:43]
	v_fma_f64 v[24:25], v[24:25], v[0:1], -v[44:45]
	v_fma_f64 v[26:27], v[26:27], v[4:5], v[46:47]
	v_fma_f64 v[28:29], v[28:29], v[4:5], -v[48:49]
	;; [unrolled: 2-line block ×5, first 2 shown]
	ds_write_b128 v133, v[22:25]
	ds_write_b128 v133, v[26:29] offset:5488
	ds_write_b128 v133, v[30:33] offset:10976
	;; [unrolled: 1-line block ×4, first 2 shown]
	s_and_saveexec_b32 s12, vcc_lo
	s_cbranch_execz .LBB0_3
; %bb.2:
	v_mad_u64_u32 v[20:21], null, 0xffffb990, s0, v[20:21]
	s_mulk_i32 s1, 0xb990
	s_sub_i32 s0, s1, s0
	v_add_nc_u32_e32 v21, s0, v21
	v_add_co_u32 v24, s0, 0x800, v134
	v_add_co_ci_u32_e64 v25, s0, 0, v135, s0
	v_add_co_u32 v28, s0, v20, s6
	v_add_co_ci_u32_e64 v29, s0, s7, v21, s0
	;; [unrolled: 2-line block ×8, first 2 shown]
	v_add_co_u32 v56, s0, v44, s6
	global_load_dwordx4 v[20:23], v[20:21], off
	global_load_dwordx4 v[24:27], v[24:25], off offset:1872
	global_load_dwordx4 v[28:31], v[28:29], off
	global_load_dwordx4 v[32:35], v[32:33], off offset:1216
	global_load_dwordx4 v[36:39], v[40:41], off
	v_add_co_ci_u32_e64 v57, s0, s7, v45, s0
	global_load_dwordx4 v[40:43], v[42:43], off offset:560
	global_load_dwordx4 v[44:47], v[44:45], off
	s_clause 0x1
	global_load_dwordx4 v[48:51], v[48:49], off offset:1952
	global_load_dwordx4 v[52:55], v[52:53], off offset:1296
	global_load_dwordx4 v[56:59], v[56:57], off
	s_waitcnt vmcnt(8)
	v_mul_f64 v[60:61], v[22:23], v[26:27]
	v_mul_f64 v[26:27], v[20:21], v[26:27]
	s_waitcnt vmcnt(6)
	v_mul_f64 v[62:63], v[30:31], v[34:35]
	v_mul_f64 v[34:35], v[28:29], v[34:35]
	;; [unrolled: 3-line block ×5, first 2 shown]
	v_fma_f64 v[20:21], v[20:21], v[24:25], v[60:61]
	v_fma_f64 v[22:23], v[22:23], v[24:25], -v[26:27]
	v_fma_f64 v[24:25], v[28:29], v[32:33], v[62:63]
	v_fma_f64 v[26:27], v[30:31], v[32:33], -v[34:35]
	;; [unrolled: 2-line block ×5, first 2 shown]
	ds_write_b128 v133, v[20:23] offset:3920
	ds_write_b128 v133, v[24:27] offset:9408
	;; [unrolled: 1-line block ×5, first 2 shown]
.LBB0_3:
	s_or_b32 exec_lo, exec_lo, s12
	s_waitcnt lgkmcnt(0)
	s_barrier
	buffer_gl0_inv
	ds_read_b128 v[52:55], v133
	ds_read_b128 v[56:59], v133 offset:5488
	ds_read_b128 v[28:31], v133 offset:10976
	;; [unrolled: 1-line block ×4, first 2 shown]
	s_load_dwordx2 s[0:1], s[4:5], 0x8
                                        ; implicit-def: $vgpr32_vgpr33
                                        ; implicit-def: $vgpr36_vgpr37
                                        ; implicit-def: $vgpr40_vgpr41
                                        ; implicit-def: $vgpr44_vgpr45
                                        ; implicit-def: $vgpr48_vgpr49
	s_and_saveexec_b32 s4, vcc_lo
	s_cbranch_execz .LBB0_5
; %bb.4:
	ds_read_b128 v[32:35], v133 offset:3920
	ds_read_b128 v[36:39], v133 offset:9408
	;; [unrolled: 1-line block ×5, first 2 shown]
.LBB0_5:
	s_or_b32 exec_lo, exec_lo, s4
	s_waitcnt lgkmcnt(0)
	v_add_f64 v[60:61], v[28:29], v[24:25]
	v_add_f64 v[64:65], v[52:53], v[56:57]
	;; [unrolled: 1-line block ×9, first 2 shown]
	v_add_f64 v[66:67], v[58:59], -v[22:23]
	v_add_f64 v[68:69], v[30:31], -v[26:27]
	;; [unrolled: 1-line block ×4, first 2 shown]
	v_add_f64 v[86:87], v[54:55], v[58:59]
	v_add_f64 v[94:95], v[56:57], -v[20:21]
	v_add_f64 v[96:97], v[28:29], -v[24:25]
	;; [unrolled: 1-line block ×6, first 2 shown]
	s_mov_b32 s4, 0x134454ff
	s_mov_b32 s5, 0x3fee6f0e
	v_fma_f64 v[92:93], v[60:61], -0.5, v[52:53]
	v_add_f64 v[28:29], v[64:65], v[28:29]
	v_fma_f64 v[100:101], v[62:63], -0.5, v[52:53]
	v_fma_f64 v[70:71], v[70:71], -0.5, v[54:55]
	;; [unrolled: 1-line block ×5, first 2 shown]
	v_add_f64 v[62:63], v[36:37], -v[48:49]
	v_add_f64 v[54:55], v[40:41], -v[44:45]
	v_fma_f64 v[60:61], v[88:89], -0.5, v[34:35]
	v_fma_f64 v[64:65], v[90:91], -0.5, v[34:35]
	s_mov_b32 s15, 0xbfee6f0e
	s_mov_b32 s14, s4
	v_add_f64 v[76:77], v[20:21], -v[24:25]
	v_add_f64 v[84:85], v[24:25], -v[20:21]
	v_add_f64 v[102:103], v[22:23], -v[26:27]
	v_add_f64 v[106:107], v[26:27], -v[22:23]
	v_add_f64 v[108:109], v[36:37], -v[40:41]
	v_add_f64 v[110:111], v[48:49], -v[44:45]
	v_add_f64 v[112:113], v[40:41], -v[36:37]
	v_add_f64 v[88:89], v[44:45], -v[48:49]
	v_add_f64 v[114:115], v[38:39], -v[42:43]
	v_fma_f64 v[80:81], v[66:67], s[4:5], v[92:93]
	v_fma_f64 v[90:91], v[66:67], s[14:15], v[92:93]
	;; [unrolled: 1-line block ×4, first 2 shown]
	v_add_f64 v[30:31], v[86:87], v[30:31]
	v_fma_f64 v[86:87], v[94:95], s[14:15], v[70:71]
	v_add_f64 v[116:117], v[50:51], -v[46:47]
	v_add_f64 v[120:121], v[42:43], -v[38:39]
	;; [unrolled: 1-line block ×3, first 2 shown]
	v_fma_f64 v[124:125], v[56:57], s[14:15], v[52:53]
	v_fma_f64 v[126:127], v[58:59], s[14:15], v[78:79]
	v_fma_f64 v[78:79], v[58:59], s[4:5], v[78:79]
	v_add_f64 v[24:25], v[28:29], v[24:25]
	v_fma_f64 v[28:29], v[62:63], s[4:5], v[60:61]
	v_fma_f64 v[128:129], v[54:55], s[4:5], v[64:65]
	;; [unrolled: 1-line block ×6, first 2 shown]
	s_mov_b32 s6, 0x4755a5e
	s_mov_b32 s7, 0x3fe2cf23
	;; [unrolled: 1-line block ×4, first 2 shown]
	v_fma_f64 v[80:81], v[68:69], s[6:7], v[80:81]
	v_add_f64 v[76:77], v[72:73], v[76:77]
	v_fma_f64 v[92:93], v[66:67], s[6:7], v[92:93]
	v_add_f64 v[82:83], v[82:83], v[84:85]
	;; [unrolled: 2-line block ×4, first 2 shown]
	v_add_f64 v[100:101], v[104:105], v[106:107]
	v_add_f64 v[64:65], v[108:109], v[110:111]
	v_fma_f64 v[102:103], v[58:59], s[12:13], v[124:125]
	v_fma_f64 v[104:105], v[56:57], s[6:7], v[126:127]
	v_add_f64 v[88:89], v[112:113], v[88:89]
	v_fma_f64 v[106:107], v[56:57], s[12:13], v[78:79]
	v_add_f64 v[66:67], v[114:115], v[116:117]
	v_fma_f64 v[108:109], v[54:55], s[6:7], v[28:29]
	v_fma_f64 v[110:111], v[62:63], s[12:13], v[128:129]
	v_add_f64 v[112:113], v[120:121], v[122:123]
	v_fma_f64 v[114:115], v[62:63], s[6:7], v[130:131]
	v_fma_f64 v[98:99], v[94:95], s[12:13], v[118:119]
	;; [unrolled: 1-line block ×5, first 2 shown]
	s_mov_b32 s12, 0x372fe950
	s_mov_b32 s13, 0x3fd3c6ef
	v_add_f64 v[68:69], v[24:25], v[20:21]
	v_fma_f64 v[72:73], v[76:77], s[12:13], v[80:81]
	v_add_f64 v[70:71], v[26:27], v[22:23]
	v_fma_f64 v[80:81], v[82:83], s[12:13], v[92:93]
	v_fma_f64 v[74:75], v[86:87], s[12:13], v[30:31]
	;; [unrolled: 1-line block ×4, first 2 shown]
	s_barrier
	v_fma_f64 v[28:29], v[88:89], s[12:13], v[104:105]
	v_fma_f64 v[24:25], v[88:89], s[12:13], v[106:107]
	v_mul_lo_u16 v88, v136, 5
	v_fma_f64 v[22:23], v[66:67], s[12:13], v[108:109]
	v_mov_b32_e32 v89, 4
	v_fma_f64 v[30:31], v[112:113], s[12:13], v[110:111]
	v_fma_f64 v[26:27], v[112:113], s[12:13], v[114:115]
	;; [unrolled: 1-line block ×6, first 2 shown]
	v_lshlrev_b32_sdwa v138, v89, v88 dst_sel:DWORD dst_unused:UNUSED_PAD src0_sel:DWORD src1_sel:WORD_0
	v_add_co_u32 v88, null, 0xf5, v136
	buffer_gl0_inv
	ds_write_b128 v138, v[68:71]
	v_mul_u32_u24_e32 v137, 5, v88
	ds_write_b128 v138, v[72:75] offset:16
	ds_write_b128 v138, v[80:83] offset:32
	;; [unrolled: 1-line block ×4, first 2 shown]
	s_and_saveexec_b32 s14, vcc_lo
	s_cbranch_execz .LBB0_7
; %bb.6:
	v_add_f64 v[34:35], v[34:35], v[38:39]
	v_add_f64 v[32:33], v[32:33], v[36:37]
	v_mul_f64 v[62:63], v[62:63], s[4:5]
	v_mul_f64 v[36:37], v[56:57], s[4:5]
	;; [unrolled: 1-line block ×4, first 2 shown]
	v_add_f64 v[34:35], v[34:35], v[42:43]
	v_add_f64 v[32:33], v[32:33], v[40:41]
	v_add_f64 v[56:57], v[60:61], -v[62:63]
	v_add_f64 v[36:37], v[52:53], v[36:37]
	v_mul_f64 v[40:41], v[64:65], s[12:13]
	v_mul_f64 v[42:43], v[66:67], s[12:13]
	v_add_f64 v[46:47], v[34:35], v[46:47]
	v_add_f64 v[32:33], v[32:33], v[44:45]
	v_add_f64 v[52:53], v[56:57], -v[54:55]
	v_add_f64 v[44:45], v[38:39], v[36:37]
	v_add_f64 v[38:39], v[46:47], v[50:51]
	;; [unrolled: 1-line block ×5, first 2 shown]
	v_lshlrev_b32_e32 v40, 4, v137
	ds_write_b128 v40, v[28:31] offset:32
	ds_write_b128 v40, v[24:27] offset:48
	ds_write_b128 v40, v[36:39]
	ds_write_b128 v40, v[32:35] offset:16
	ds_write_b128 v40, v[20:23] offset:64
.LBB0_7:
	s_or_b32 exec_lo, exec_lo, s14
	v_and_b32_e32 v108, 0xff, v136
	s_waitcnt lgkmcnt(0)
	s_barrier
	buffer_gl0_inv
	s_mov_b32 s6, 0x37e14327
	v_mul_lo_u16 v32, 0xcd, v108
	s_mov_b32 s16, 0xe976ee23
	s_mov_b32 s7, 0x3fe948f6
	;; [unrolled: 1-line block ×4, first 2 shown]
	v_lshrrev_b16 v109, 10, v32
	s_mov_b32 s4, 0x36b3c0b5
	s_mov_b32 s13, 0x3febfeb5
	;; [unrolled: 1-line block ×4, first 2 shown]
	v_mul_lo_u16 v32, v109, 5
	s_mov_b32 s22, 0xb247c609
	s_mov_b32 s15, 0xbff2aaaa
	;; [unrolled: 1-line block ×4, first 2 shown]
	v_sub_nc_u16 v32, v136, v32
	s_mov_b32 s19, 0x3fe77f67
	s_mov_b32 s21, 0xbfe77f67
	;; [unrolled: 1-line block ×4, first 2 shown]
	v_and_b32_e32 v110, 0xff, v32
	s_mov_b32 s24, s22
	s_mov_b32 s26, 0x37c3f68c
	;; [unrolled: 1-line block ×3, first 2 shown]
	v_mul_u32_u24_e32 v32, 6, v110
	v_lshlrev_b32_e32 v44, 4, v32
	s_clause 0x5
	global_load_dwordx4 v[36:39], v44, s[0:1]
	global_load_dwordx4 v[32:35], v44, s[0:1] offset:16
	global_load_dwordx4 v[40:43], v44, s[0:1] offset:80
	;; [unrolled: 1-line block ×5, first 2 shown]
	ds_read_b128 v[56:59], v133 offset:3920
	ds_read_b128 v[60:63], v133 offset:7840
	;; [unrolled: 1-line block ×6, first 2 shown]
	ds_read_b128 v[80:83], v133
	s_waitcnt vmcnt(0) lgkmcnt(0)
	s_barrier
	buffer_gl0_inv
	v_mul_f64 v[84:85], v[58:59], v[38:39]
	v_mul_f64 v[86:87], v[56:57], v[38:39]
	;; [unrolled: 1-line block ×12, first 2 shown]
	v_fma_f64 v[56:57], v[56:57], v[36:37], -v[84:85]
	v_fma_f64 v[58:59], v[58:59], v[36:37], v[86:87]
	v_fma_f64 v[60:61], v[60:61], v[32:33], -v[88:89]
	v_fma_f64 v[62:63], v[62:63], v[32:33], v[90:91]
	;; [unrolled: 2-line block ×6, first 2 shown]
	v_add_f64 v[84:85], v[56:57], v[64:65]
	v_add_f64 v[86:87], v[58:59], v[66:67]
	;; [unrolled: 1-line block ×4, first 2 shown]
	v_add_f64 v[60:61], v[60:61], -v[68:69]
	v_add_f64 v[62:63], v[62:63], -v[70:71]
	v_add_f64 v[68:69], v[72:73], v[76:77]
	v_add_f64 v[70:71], v[74:75], v[78:79]
	v_add_f64 v[72:73], v[76:77], -v[72:73]
	v_add_f64 v[74:75], v[78:79], -v[74:75]
	;; [unrolled: 1-line block ×4, first 2 shown]
	v_add_f64 v[56:57], v[88:89], v[84:85]
	v_add_f64 v[58:59], v[90:91], v[86:87]
	v_add_f64 v[76:77], v[84:85], -v[68:69]
	v_add_f64 v[78:79], v[86:87], -v[70:71]
	;; [unrolled: 1-line block ×6, first 2 shown]
	v_add_f64 v[60:61], v[72:73], v[60:61]
	v_add_f64 v[62:63], v[74:75], v[62:63]
	v_add_f64 v[72:73], v[64:65], -v[72:73]
	v_add_f64 v[74:75], v[66:67], -v[74:75]
	v_add_f64 v[100:101], v[68:69], v[56:57]
	v_add_f64 v[102:103], v[70:71], v[58:59]
	v_add_f64 v[68:69], v[68:69], -v[88:89]
	v_add_f64 v[70:71], v[70:71], -v[90:91]
	v_mul_f64 v[76:77], v[76:77], s[6:7]
	v_mul_f64 v[78:79], v[78:79], s[6:7]
	;; [unrolled: 1-line block ×6, first 2 shown]
	v_add_f64 v[60:61], v[60:61], v[64:65]
	v_add_f64 v[62:63], v[62:63], v[66:67]
	;; [unrolled: 1-line block ×4, first 2 shown]
	v_add_f64 v[80:81], v[88:89], -v[84:85]
	v_add_f64 v[82:83], v[90:91], -v[86:87]
	v_mul_f64 v[84:85], v[68:69], s[4:5]
	v_mul_f64 v[86:87], v[70:71], s[4:5]
	v_fma_f64 v[64:65], v[68:69], s[4:5], v[76:77]
	v_fma_f64 v[66:67], v[70:71], s[4:5], v[78:79]
	;; [unrolled: 1-line block ×4, first 2 shown]
	v_fma_f64 v[88:89], v[96:97], s[12:13], -v[92:93]
	v_fma_f64 v[90:91], v[98:99], s[12:13], -v[94:95]
	v_fma_f64 v[72:73], v[72:73], s[24:25], -v[104:105]
	v_fma_f64 v[74:75], v[74:75], s[24:25], -v[106:107]
	v_fma_f64 v[92:93], v[100:101], s[14:15], v[56:57]
	v_fma_f64 v[94:95], v[102:103], s[14:15], v[58:59]
	v_fma_f64 v[76:77], v[80:81], s[20:21], -v[76:77]
	v_fma_f64 v[78:79], v[82:83], s[20:21], -v[78:79]
	v_fma_f64 v[80:81], v[80:81], s[18:19], -v[84:85]
	v_fma_f64 v[82:83], v[82:83], s[18:19], -v[86:87]
	v_fma_f64 v[84:85], v[60:61], s[26:27], v[68:69]
	v_fma_f64 v[86:87], v[62:63], s[26:27], v[70:71]
	;; [unrolled: 1-line block ×6, first 2 shown]
	v_mul_lo_u16 v60, 0xeb, v108
	v_add_f64 v[100:101], v[64:65], v[92:93]
	v_add_f64 v[102:103], v[66:67], v[94:95]
	;; [unrolled: 1-line block ×6, first 2 shown]
	v_lshrrev_b16 v80, 13, v60
	v_mov_b32_e32 v92, 35
	v_mul_lo_u16 v93, v80, 35
	v_add_f64 v[60:61], v[86:87], v[100:101]
	v_add_f64 v[62:63], v[102:103], -v[84:85]
	v_add_f64 v[64:65], v[98:99], v[76:77]
	v_add_f64 v[66:67], v[78:79], -v[96:97]
	v_add_f64 v[68:69], v[72:73], -v[90:91]
	v_add_f64 v[70:71], v[88:89], v[74:75]
	v_add_f64 v[72:73], v[90:91], v[72:73]
	v_add_f64 v[74:75], v[74:75], -v[88:89]
	v_add_f64 v[83:84], v[84:85], v[102:103]
	v_sub_nc_u16 v85, v136, v93
	v_add_f64 v[76:77], v[76:77], -v[98:99]
	v_add_f64 v[78:79], v[96:97], v[78:79]
	v_add_f64 v[81:82], v[100:101], -v[86:87]
	v_mul_u32_u24_sdwa v86, v109, v92 dst_sel:DWORD dst_unused:UNUSED_PAD src0_sel:WORD_0 src1_sel:DWORD
	v_and_b32_e32 v131, 0xff, v85
	v_add_lshl_u32 v139, v86, v110, 4
	v_mad_u64_u32 v[85:86], null, 0x60, v131, s[0:1]
	ds_write_b128 v139, v[56:59]
	ds_write_b128 v139, v[60:63] offset:80
	ds_write_b128 v139, v[64:67] offset:160
	;; [unrolled: 1-line block ×6, first 2 shown]
	s_waitcnt lgkmcnt(0)
	s_barrier
	buffer_gl0_inv
	s_clause 0x5
	global_load_dwordx4 v[60:63], v[85:86], off offset:480
	global_load_dwordx4 v[56:59], v[85:86], off offset:496
	;; [unrolled: 1-line block ×6, first 2 shown]
	ds_read_b128 v[81:84], v133 offset:3920
	ds_read_b128 v[85:88], v133 offset:7840
	ds_read_b128 v[89:92], v133 offset:23520
	ds_read_b128 v[93:96], v133 offset:19600
	ds_read_b128 v[97:100], v133 offset:11760
	ds_read_b128 v[101:104], v133 offset:15680
	ds_read_b128 v[105:108], v133
	s_waitcnt vmcnt(0) lgkmcnt(0)
	s_barrier
	buffer_gl0_inv
	v_mul_f64 v[109:110], v[83:84], v[62:63]
	v_mul_f64 v[111:112], v[81:82], v[62:63]
	;; [unrolled: 1-line block ×12, first 2 shown]
	v_fma_f64 v[81:82], v[81:82], v[60:61], -v[109:110]
	v_fma_f64 v[83:84], v[83:84], v[60:61], v[111:112]
	v_fma_f64 v[85:86], v[85:86], v[56:57], -v[113:114]
	v_fma_f64 v[87:88], v[87:88], v[56:57], v[115:116]
	;; [unrolled: 2-line block ×6, first 2 shown]
	v_add_f64 v[109:110], v[81:82], v[89:90]
	v_add_f64 v[111:112], v[83:84], v[91:92]
	;; [unrolled: 1-line block ×4, first 2 shown]
	v_add_f64 v[85:86], v[85:86], -v[93:94]
	v_add_f64 v[87:88], v[87:88], -v[95:96]
	v_add_f64 v[93:94], v[97:98], v[101:102]
	v_add_f64 v[95:96], v[99:100], v[103:104]
	v_add_f64 v[97:98], v[101:102], -v[97:98]
	v_add_f64 v[99:100], v[103:104], -v[99:100]
	;; [unrolled: 1-line block ×4, first 2 shown]
	v_add_f64 v[81:82], v[113:114], v[109:110]
	v_add_f64 v[83:84], v[115:116], v[111:112]
	v_add_f64 v[101:102], v[109:110], -v[93:94]
	v_add_f64 v[103:104], v[111:112], -v[95:96]
	;; [unrolled: 1-line block ×6, first 2 shown]
	v_add_f64 v[85:86], v[97:98], v[85:86]
	v_add_f64 v[87:88], v[99:100], v[87:88]
	v_add_f64 v[97:98], v[89:90], -v[97:98]
	v_add_f64 v[99:100], v[91:92], -v[99:100]
	v_add_f64 v[125:126], v[93:94], v[81:82]
	v_add_f64 v[127:128], v[95:96], v[83:84]
	v_add_f64 v[93:94], v[93:94], -v[113:114]
	v_add_f64 v[95:96], v[95:96], -v[115:116]
	v_mul_f64 v[101:102], v[101:102], s[6:7]
	v_mul_f64 v[103:104], v[103:104], s[6:7]
	;; [unrolled: 1-line block ×6, first 2 shown]
	v_add_f64 v[85:86], v[85:86], v[89:90]
	v_add_f64 v[87:88], v[87:88], v[91:92]
	;; [unrolled: 1-line block ×4, first 2 shown]
	v_add_f64 v[105:106], v[113:114], -v[109:110]
	v_add_f64 v[107:108], v[115:116], -v[111:112]
	v_mul_f64 v[109:110], v[93:94], s[4:5]
	v_mul_f64 v[111:112], v[95:96], s[4:5]
	v_fma_f64 v[89:90], v[93:94], s[4:5], v[101:102]
	v_fma_f64 v[91:92], v[95:96], s[4:5], v[103:104]
	;; [unrolled: 1-line block ×4, first 2 shown]
	v_fma_f64 v[113:114], v[121:122], s[12:13], -v[117:118]
	v_fma_f64 v[115:116], v[123:124], s[12:13], -v[119:120]
	;; [unrolled: 1-line block ×4, first 2 shown]
	v_fma_f64 v[117:118], v[125:126], s[14:15], v[81:82]
	v_fma_f64 v[119:120], v[127:128], s[14:15], v[83:84]
	v_fma_f64 v[101:102], v[105:106], s[20:21], -v[101:102]
	v_fma_f64 v[103:104], v[107:108], s[20:21], -v[103:104]
	;; [unrolled: 1-line block ×4, first 2 shown]
	v_fma_f64 v[109:110], v[85:86], s[26:27], v[93:94]
	v_fma_f64 v[111:112], v[87:88], s[26:27], v[95:96]
	;; [unrolled: 1-line block ×6, first 2 shown]
	v_add_f64 v[125:126], v[89:90], v[117:118]
	v_add_f64 v[127:128], v[91:92], v[119:120]
	;; [unrolled: 1-line block ×6, first 2 shown]
	v_mad_u64_u32 v[117:118], null, 0x60, v136, s[0:1]
	v_mov_b32_e32 v119, 0xf5
	v_mul_u32_u24_sdwa v80, v80, v119 dst_sel:DWORD dst_unused:UNUSED_PAD src0_sel:WORD_0 src1_sel:DWORD
	v_add_lshl_u32 v140, v80, v131, 4
	v_add_f64 v[85:86], v[111:112], v[125:126]
	v_add_f64 v[87:88], v[127:128], -v[109:110]
	v_add_f64 v[89:90], v[123:124], v[101:102]
	v_add_f64 v[91:92], v[103:104], -v[121:122]
	v_add_f64 v[93:94], v[97:98], -v[115:116]
	v_add_f64 v[95:96], v[113:114], v[99:100]
	v_add_f64 v[97:98], v[115:116], v[97:98]
	v_add_f64 v[99:100], v[99:100], -v[113:114]
	v_add_f64 v[101:102], v[101:102], -v[123:124]
	v_add_f64 v[103:104], v[121:122], v[103:104]
	v_add_f64 v[105:106], v[125:126], -v[111:112]
	v_add_f64 v[107:108], v[109:110], v[127:128]
	v_add_co_u32 v109, s0, 0xf00, v117
	v_add_co_ci_u32_e64 v110, s0, 0, v118, s0
	v_add_co_u32 v111, s0, 0x800, v117
	v_add_co_ci_u32_e64 v112, s0, 0, v118, s0
	;; [unrolled: 2-line block ×3, first 2 shown]
	ds_write_b128 v140, v[81:84]
	ds_write_b128 v140, v[85:88] offset:560
	ds_write_b128 v140, v[89:92] offset:1120
	;; [unrolled: 1-line block ×6, first 2 shown]
	s_waitcnt lgkmcnt(0)
	s_barrier
	buffer_gl0_inv
	s_clause 0x5
	global_load_dwordx4 v[84:87], v[111:112], off offset:1792
	global_load_dwordx4 v[80:83], v[109:110], off offset:16
	;; [unrolled: 1-line block ×6, first 2 shown]
	ds_read_b128 v[104:107], v133 offset:3920
	ds_read_b128 v[108:111], v133 offset:7840
	ds_read_b128 v[112:115], v133 offset:23520
	ds_read_b128 v[116:119], v133 offset:19600
	ds_read_b128 v[120:123], v133 offset:11760
	ds_read_b128 v[124:127], v133 offset:15680
	ds_read_b128 v[128:131], v133
	s_waitcnt vmcnt(5) lgkmcnt(6)
	v_mul_f64 v[141:142], v[106:107], v[86:87]
	v_mul_f64 v[143:144], v[104:105], v[86:87]
	s_waitcnt vmcnt(4) lgkmcnt(5)
	v_mul_f64 v[145:146], v[110:111], v[82:83]
	v_mul_f64 v[147:148], v[108:109], v[82:83]
	;; [unrolled: 3-line block ×6, first 2 shown]
	v_fma_f64 v[104:105], v[104:105], v[84:85], -v[141:142]
	v_fma_f64 v[106:107], v[106:107], v[84:85], v[143:144]
	v_fma_f64 v[108:109], v[108:109], v[80:81], -v[145:146]
	v_fma_f64 v[110:111], v[110:111], v[80:81], v[147:148]
	v_fma_f64 v[112:113], v[112:113], v[100:101], -v[149:150]
	v_fma_f64 v[114:115], v[114:115], v[100:101], v[151:152]
	v_fma_f64 v[116:117], v[116:117], v[96:97], -v[153:154]
	v_fma_f64 v[118:119], v[118:119], v[96:97], v[155:156]
	v_fma_f64 v[120:121], v[120:121], v[92:93], -v[157:158]
	v_fma_f64 v[122:123], v[122:123], v[92:93], v[159:160]
	v_fma_f64 v[124:125], v[124:125], v[88:89], -v[161:162]
	v_fma_f64 v[126:127], v[126:127], v[88:89], v[163:164]
	v_add_f64 v[141:142], v[104:105], v[112:113]
	v_add_f64 v[143:144], v[106:107], v[114:115]
	;; [unrolled: 1-line block ×4, first 2 shown]
	v_add_f64 v[108:109], v[108:109], -v[116:117]
	v_add_f64 v[110:111], v[110:111], -v[118:119]
	v_add_f64 v[116:117], v[120:121], v[124:125]
	v_add_f64 v[118:119], v[122:123], v[126:127]
	v_add_f64 v[120:121], v[124:125], -v[120:121]
	v_add_f64 v[122:123], v[126:127], -v[122:123]
	;; [unrolled: 1-line block ×4, first 2 shown]
	v_add_f64 v[112:113], v[145:146], v[141:142]
	v_add_f64 v[114:115], v[147:148], v[143:144]
	v_add_f64 v[124:125], v[141:142], -v[116:117]
	v_add_f64 v[126:127], v[143:144], -v[118:119]
	;; [unrolled: 1-line block ×6, first 2 shown]
	v_add_f64 v[108:109], v[120:121], v[108:109]
	v_add_f64 v[110:111], v[122:123], v[110:111]
	v_add_f64 v[120:121], v[104:105], -v[120:121]
	v_add_f64 v[122:123], v[106:107], -v[122:123]
	v_add_f64 v[157:158], v[116:117], v[112:113]
	v_add_f64 v[159:160], v[118:119], v[114:115]
	v_add_f64 v[116:117], v[116:117], -v[145:146]
	v_add_f64 v[118:119], v[118:119], -v[147:148]
	v_mul_f64 v[124:125], v[124:125], s[6:7]
	v_mul_f64 v[126:127], v[126:127], s[6:7]
	;; [unrolled: 1-line block ×6, first 2 shown]
	v_add_f64 v[104:105], v[108:109], v[104:105]
	v_add_f64 v[106:107], v[110:111], v[106:107]
	s_waitcnt lgkmcnt(0)
	v_add_f64 v[112:113], v[128:129], v[157:158]
	v_add_f64 v[114:115], v[130:131], v[159:160]
	v_add_f64 v[128:129], v[145:146], -v[141:142]
	v_add_f64 v[130:131], v[147:148], -v[143:144]
	v_mul_f64 v[141:142], v[116:117], s[4:5]
	v_mul_f64 v[143:144], v[118:119], s[4:5]
	v_fma_f64 v[108:109], v[116:117], s[4:5], v[124:125]
	v_fma_f64 v[110:111], v[118:119], s[4:5], v[126:127]
	;; [unrolled: 1-line block ×4, first 2 shown]
	v_fma_f64 v[145:146], v[153:154], s[12:13], -v[149:150]
	v_fma_f64 v[147:148], v[155:156], s[12:13], -v[151:152]
	;; [unrolled: 1-line block ×4, first 2 shown]
	v_fma_f64 v[149:150], v[157:158], s[14:15], v[112:113]
	v_fma_f64 v[151:152], v[159:160], s[14:15], v[114:115]
	v_fma_f64 v[124:125], v[128:129], s[20:21], -v[124:125]
	v_fma_f64 v[126:127], v[130:131], s[20:21], -v[126:127]
	;; [unrolled: 1-line block ×4, first 2 shown]
	v_fma_f64 v[141:142], v[104:105], s[26:27], v[116:117]
	v_fma_f64 v[143:144], v[106:107], s[26:27], v[118:119]
	;; [unrolled: 1-line block ×6, first 2 shown]
	v_add_f64 v[108:109], v[108:109], v[149:150]
	v_add_f64 v[110:111], v[110:111], v[151:152]
	;; [unrolled: 1-line block ×7, first 2 shown]
	v_add_f64 v[118:119], v[110:111], -v[141:142]
	v_add_f64 v[120:121], v[104:105], v[106:107]
	v_add_f64 v[122:123], v[155:156], -v[153:154]
	v_add_f64 v[124:125], v[128:129], -v[147:148]
	v_add_f64 v[126:127], v[145:146], v[130:131]
	v_add_f64 v[128:129], v[147:148], v[128:129]
	v_add_f64 v[130:131], v[130:131], -v[145:146]
	v_add_f64 v[104:105], v[106:107], -v[104:105]
	v_add_f64 v[106:107], v[153:154], v[155:156]
	v_add_f64 v[108:109], v[108:109], -v[143:144]
	v_add_f64 v[110:111], v[141:142], v[110:111]
	v_add_co_u32 v141, s0, 0x6800, v134
	v_add_co_ci_u32_e64 v142, s0, 0, v135, s0
	v_add_co_u32 v143, s0, 0x8000, v134
	v_add_co_ci_u32_e64 v144, s0, 0, v135, s0
	;; [unrolled: 2-line block ×4, first 2 shown]
	ds_write_b128 v133, v[112:115]
	ds_write_b128 v133, v[116:119] offset:3920
	ds_write_b128 v133, v[120:123] offset:7840
	;; [unrolled: 1-line block ×6, first 2 shown]
	v_add_co_u32 v128, s0, 0xc000, v134
	s_waitcnt lgkmcnt(0)
	s_barrier
	buffer_gl0_inv
	s_clause 0x1
	global_load_dwordx4 v[112:115], v[141:142], off offset:816
	global_load_dwordx4 v[116:119], v[143:144], off offset:160
	v_add_co_ci_u32_e64 v129, s0, 0, v135, s0
	s_clause 0x2
	global_load_dwordx4 v[120:123], v[145:146], off offset:1552
	global_load_dwordx4 v[124:127], v[147:148], off offset:896
	;; [unrolled: 1-line block ×3, first 2 shown]
	ds_read_b128 v[141:144], v133
	ds_read_b128 v[145:148], v133 offset:5488
	ds_read_b128 v[149:152], v133 offset:10976
	;; [unrolled: 1-line block ×4, first 2 shown]
	s_waitcnt vmcnt(4) lgkmcnt(4)
	v_mul_f64 v[161:162], v[143:144], v[114:115]
	v_mul_f64 v[114:115], v[141:142], v[114:115]
	s_waitcnt vmcnt(3) lgkmcnt(3)
	v_mul_f64 v[163:164], v[147:148], v[118:119]
	v_mul_f64 v[118:119], v[145:146], v[118:119]
	;; [unrolled: 3-line block ×5, first 2 shown]
	v_fma_f64 v[141:142], v[141:142], v[112:113], -v[161:162]
	v_fma_f64 v[143:144], v[143:144], v[112:113], v[114:115]
	v_fma_f64 v[112:113], v[145:146], v[116:117], -v[163:164]
	v_fma_f64 v[114:115], v[147:148], v[116:117], v[118:119]
	;; [unrolled: 2-line block ×5, first 2 shown]
	ds_write_b128 v133, v[141:144]
	ds_write_b128 v133, v[112:115] offset:5488
	ds_write_b128 v133, v[116:119] offset:10976
	;; [unrolled: 1-line block ×4, first 2 shown]
	s_and_saveexec_b32 s1, vcc_lo
	s_cbranch_execz .LBB0_9
; %bb.8:
	v_add_co_u32 v122, s0, 0x6b30, v134
	v_add_co_ci_u32_e64 v123, s0, 0, v135, s0
	v_add_co_u32 v112, s0, 0x800, v122
	v_add_co_ci_u32_e64 v113, s0, 0, v123, s0
	;; [unrolled: 2-line block ×5, first 2 shown]
	v_add_co_u32 v128, s0, 0x6000, v122
	s_clause 0x1
	global_load_dwordx4 v[112:115], v[112:113], off offset:1872
	global_load_dwordx4 v[116:119], v[116:117], off offset:1216
	v_add_co_ci_u32_e64 v129, s0, 0, v123, s0
	s_clause 0x2
	global_load_dwordx4 v[120:123], v[120:121], off offset:560
	global_load_dwordx4 v[124:127], v[124:125], off offset:1952
	;; [unrolled: 1-line block ×3, first 2 shown]
	ds_read_b128 v[141:144], v133 offset:3920
	ds_read_b128 v[145:148], v133 offset:9408
	;; [unrolled: 1-line block ×5, first 2 shown]
	s_waitcnt vmcnt(4) lgkmcnt(4)
	v_mul_f64 v[161:162], v[143:144], v[114:115]
	v_mul_f64 v[114:115], v[141:142], v[114:115]
	s_waitcnt vmcnt(3) lgkmcnt(3)
	v_mul_f64 v[163:164], v[147:148], v[118:119]
	v_mul_f64 v[118:119], v[145:146], v[118:119]
	;; [unrolled: 3-line block ×5, first 2 shown]
	v_fma_f64 v[141:142], v[141:142], v[112:113], -v[161:162]
	v_fma_f64 v[143:144], v[143:144], v[112:113], v[114:115]
	v_fma_f64 v[112:113], v[145:146], v[116:117], -v[163:164]
	v_fma_f64 v[114:115], v[147:148], v[116:117], v[118:119]
	;; [unrolled: 2-line block ×5, first 2 shown]
	ds_write_b128 v133, v[141:144] offset:3920
	ds_write_b128 v133, v[112:115] offset:9408
	;; [unrolled: 1-line block ×5, first 2 shown]
.LBB0_9:
	s_or_b32 exec_lo, exec_lo, s1
	s_waitcnt lgkmcnt(0)
	s_barrier
	buffer_gl0_inv
	ds_read_b128 v[128:131], v133
	ds_read_b128 v[124:127], v133 offset:5488
	ds_read_b128 v[120:123], v133 offset:10976
	;; [unrolled: 1-line block ×4, first 2 shown]
	s_and_saveexec_b32 s0, vcc_lo
	s_cbranch_execz .LBB0_11
; %bb.10:
	ds_read_b128 v[104:107], v133 offset:3920
	ds_read_b128 v[108:111], v133 offset:9408
	;; [unrolled: 1-line block ×5, first 2 shown]
.LBB0_11:
	s_or_b32 exec_lo, exec_lo, s0
	s_waitcnt lgkmcnt(1)
	v_add_f64 v[141:142], v[120:121], v[116:117]
	v_add_f64 v[145:146], v[122:123], v[118:119]
	s_waitcnt lgkmcnt(0)
	v_add_f64 v[143:144], v[124:125], v[112:113]
	v_add_f64 v[147:148], v[126:127], v[114:115]
	;; [unrolled: 1-line block ×4, first 2 shown]
	v_add_f64 v[151:152], v[126:127], -v[114:115]
	v_add_f64 v[157:158], v[124:125], -v[112:113]
	;; [unrolled: 1-line block ×3, first 2 shown]
	s_mov_b32 s0, 0x134454ff
	s_mov_b32 s1, 0xbfee6f0e
	;; [unrolled: 1-line block ×4, first 2 shown]
	v_add_f64 v[163:164], v[126:127], -v[122:123]
	v_add_f64 v[126:127], v[122:123], -v[126:127]
	;; [unrolled: 1-line block ×6, first 2 shown]
	s_mov_b32 s12, 0x4755a5e
	s_mov_b32 s13, 0xbfe2cf23
	;; [unrolled: 1-line block ×3, first 2 shown]
	v_fma_f64 v[141:142], v[141:142], -0.5, v[128:129]
	v_fma_f64 v[145:146], v[145:146], -0.5, v[130:131]
	;; [unrolled: 1-line block ×3, first 2 shown]
	v_add_f64 v[143:144], v[120:121], -v[116:117]
	v_fma_f64 v[130:131], v[147:148], -0.5, v[130:131]
	v_add_f64 v[147:148], v[124:125], -v[120:121]
	v_add_f64 v[124:125], v[120:121], -v[124:125]
	v_add_f64 v[120:121], v[149:150], v[120:121]
	v_add_f64 v[122:123], v[155:156], v[122:123]
	s_mov_b32 s6, s12
	s_mov_b32 s14, 0x372fe950
	;; [unrolled: 1-line block ×3, first 2 shown]
	s_barrier
	buffer_gl0_inv
	v_fma_f64 v[149:150], v[151:152], s[0:1], v[141:142]
	v_fma_f64 v[141:142], v[151:152], s[4:5], v[141:142]
	;; [unrolled: 1-line block ×8, first 2 shown]
	v_add_f64 v[116:117], v[120:121], v[116:117]
	v_add_f64 v[118:119], v[122:123], v[118:119]
	;; [unrolled: 1-line block ×6, first 2 shown]
	v_fma_f64 v[120:121], v[153:154], s[12:13], v[149:150]
	v_fma_f64 v[122:123], v[153:154], s[6:7], v[141:142]
	;; [unrolled: 1-line block ×8, first 2 shown]
	v_add_f64 v[112:113], v[116:117], v[112:113]
	v_add_f64 v[114:115], v[118:119], v[114:115]
	v_fma_f64 v[116:117], v[147:148], s[14:15], v[120:121]
	v_fma_f64 v[120:121], v[147:148], s[14:15], v[122:123]
	v_fma_f64 v[118:119], v[161:162], s[14:15], v[141:142]
	v_fma_f64 v[124:125], v[159:160], s[14:15], v[124:125]
	v_fma_f64 v[128:129], v[159:160], s[14:15], v[126:127]
	v_fma_f64 v[126:127], v[163:164], s[14:15], v[149:150]
	v_fma_f64 v[130:131], v[163:164], s[14:15], v[130:131]
	v_fma_f64 v[122:123], v[161:162], s[14:15], v[143:144]
	ds_write_b128 v138, v[112:115]
	ds_write_b128 v138, v[116:119] offset:16
	ds_write_b128 v138, v[124:127] offset:32
	;; [unrolled: 1-line block ×4, first 2 shown]
	s_and_saveexec_b32 s16, vcc_lo
	s_cbranch_execz .LBB0_13
; %bb.12:
	v_add_f64 v[112:113], v[110:111], v[22:23]
	v_add_f64 v[114:115], v[30:31], v[26:27]
	;; [unrolled: 1-line block ×6, first 2 shown]
	v_add_f64 v[120:121], v[28:29], -v[24:25]
	v_add_f64 v[122:123], v[108:109], -v[20:21]
	;; [unrolled: 1-line block ×9, first 2 shown]
	v_fma_f64 v[112:113], v[112:113], -0.5, v[106:107]
	v_fma_f64 v[106:107], v[114:115], -0.5, v[106:107]
	;; [unrolled: 1-line block ×3, first 2 shown]
	v_add_f64 v[114:115], v[30:31], -v[26:27]
	v_fma_f64 v[104:105], v[118:119], -0.5, v[104:105]
	v_add_f64 v[118:119], v[30:31], -v[110:111]
	v_add_f64 v[110:111], v[110:111], -v[30:31]
	v_add_f64 v[30:31], v[124:125], v[30:31]
	v_add_f64 v[28:29], v[126:127], v[28:29]
	v_fma_f64 v[124:125], v[120:121], s[4:5], v[112:113]
	v_fma_f64 v[112:113], v[120:121], s[0:1], v[112:113]
	;; [unrolled: 1-line block ×8, first 2 shown]
	v_add_f64 v[26:27], v[30:31], v[26:27]
	v_add_f64 v[24:25], v[28:29], v[24:25]
	;; [unrolled: 1-line block ×6, first 2 shown]
	v_fma_f64 v[28:29], v[122:123], s[12:13], v[124:125]
	v_fma_f64 v[30:31], v[122:123], s[6:7], v[112:113]
	;; [unrolled: 1-line block ×8, first 2 shown]
	v_add_f64 v[22:23], v[26:27], v[22:23]
	v_add_f64 v[20:21], v[24:25], v[20:21]
	v_fma_f64 v[26:27], v[118:119], s[14:15], v[28:29]
	v_fma_f64 v[30:31], v[118:119], s[14:15], v[30:31]
	;; [unrolled: 1-line block ×8, first 2 shown]
	v_lshlrev_b32_e32 v112, 4, v137
	ds_write_b128 v112, v[20:23]
	ds_write_b128 v112, v[108:111] offset:16
	ds_write_b128 v112, v[28:31] offset:32
	;; [unrolled: 1-line block ×4, first 2 shown]
.LBB0_13:
	s_or_b32 exec_lo, exec_lo, s16
	s_waitcnt lgkmcnt(0)
	s_barrier
	buffer_gl0_inv
	ds_read_b128 v[20:23], v133 offset:3920
	ds_read_b128 v[24:27], v133 offset:7840
	;; [unrolled: 1-line block ×6, first 2 shown]
	s_mov_b32 s4, 0x37e14327
	s_mov_b32 s14, 0xe976ee23
	;; [unrolled: 1-line block ×14, first 2 shown]
	s_waitcnt lgkmcnt(5)
	v_mul_f64 v[116:117], v[38:39], v[22:23]
	v_mul_f64 v[38:39], v[38:39], v[20:21]
	s_waitcnt lgkmcnt(4)
	v_mul_f64 v[118:119], v[34:35], v[26:27]
	v_mul_f64 v[34:35], v[34:35], v[24:25]
	;; [unrolled: 3-line block ×6, first 2 shown]
	s_mov_b32 s19, 0xbfe77f67
	s_mov_b32 s23, 0x3fd5d0dc
	s_mov_b32 s18, s16
	s_mov_b32 s22, s20
	s_mov_b32 s24, 0x37c3f68c
	s_mov_b32 s25, 0xbfdc38aa
	v_fma_f64 v[20:21], v[36:37], v[20:21], v[116:117]
	v_fma_f64 v[22:23], v[36:37], v[22:23], -v[38:39]
	v_fma_f64 v[24:25], v[32:33], v[24:25], v[118:119]
	v_fma_f64 v[26:27], v[32:33], v[26:27], -v[34:35]
	v_fma_f64 v[28:29], v[40:41], v[28:29], v[120:121]
	v_fma_f64 v[30:31], v[40:41], v[30:31], -v[42:43]
	v_fma_f64 v[32:33], v[52:53], v[104:105], v[122:123]
	v_fma_f64 v[34:35], v[52:53], v[106:107], -v[54:55]
	v_fma_f64 v[36:37], v[48:49], v[108:109], v[124:125]
	v_fma_f64 v[38:39], v[48:49], v[110:111], -v[50:51]
	v_fma_f64 v[40:41], v[44:45], v[112:113], v[126:127]
	v_fma_f64 v[42:43], v[44:45], v[114:115], -v[46:47]
	v_add_f64 v[44:45], v[20:21], v[28:29]
	v_add_f64 v[46:47], v[22:23], v[30:31]
	;; [unrolled: 1-line block ×4, first 2 shown]
	v_add_f64 v[24:25], v[24:25], -v[32:33]
	v_add_f64 v[26:27], v[26:27], -v[34:35]
	v_add_f64 v[32:33], v[36:37], v[40:41]
	v_add_f64 v[34:35], v[38:39], v[42:43]
	v_add_f64 v[36:37], v[40:41], -v[36:37]
	v_add_f64 v[38:39], v[42:43], -v[38:39]
	;; [unrolled: 1-line block ×4, first 2 shown]
	ds_read_b128 v[20:23], v133
	s_waitcnt lgkmcnt(0)
	s_barrier
	buffer_gl0_inv
	v_add_f64 v[40:41], v[48:49], v[44:45]
	v_add_f64 v[42:43], v[50:51], v[46:47]
	v_add_f64 v[52:53], v[44:45], -v[32:33]
	v_add_f64 v[54:55], v[46:47], -v[34:35]
	;; [unrolled: 1-line block ×6, first 2 shown]
	v_add_f64 v[24:25], v[36:37], v[24:25]
	v_add_f64 v[26:27], v[38:39], v[26:27]
	v_add_f64 v[36:37], v[28:29], -v[36:37]
	v_add_f64 v[38:39], v[30:31], -v[38:39]
	;; [unrolled: 1-line block ×4, first 2 shown]
	v_add_f64 v[40:41], v[32:33], v[40:41]
	v_add_f64 v[42:43], v[34:35], v[42:43]
	v_add_f64 v[32:33], v[32:33], -v[48:49]
	v_add_f64 v[34:35], v[34:35], -v[50:51]
	v_mul_f64 v[52:53], v[52:53], s[4:5]
	v_mul_f64 v[54:55], v[54:55], s[4:5]
	;; [unrolled: 1-line block ×6, first 2 shown]
	v_add_f64 v[24:25], v[24:25], v[28:29]
	v_add_f64 v[26:27], v[26:27], v[30:31]
	;; [unrolled: 1-line block ×4, first 2 shown]
	v_mul_f64 v[48:49], v[32:33], s[0:1]
	v_mul_f64 v[50:51], v[34:35], s[0:1]
	v_fma_f64 v[28:29], v[32:33], s[0:1], v[52:53]
	v_fma_f64 v[30:31], v[34:35], s[0:1], v[54:55]
	;; [unrolled: 1-line block ×4, first 2 shown]
	v_fma_f64 v[36:37], v[36:37], s[22:23], -v[112:113]
	v_fma_f64 v[38:39], v[38:39], s[22:23], -v[114:115]
	v_fma_f64 v[52:53], v[44:45], s[18:19], -v[52:53]
	v_fma_f64 v[54:55], v[46:47], s[18:19], -v[54:55]
	v_fma_f64 v[104:105], v[108:109], s[6:7], -v[104:105]
	v_fma_f64 v[106:107], v[110:111], s[6:7], -v[106:107]
	v_fma_f64 v[40:41], v[40:41], s[12:13], v[20:21]
	v_fma_f64 v[42:43], v[42:43], s[12:13], v[22:23]
	v_fma_f64 v[44:45], v[44:45], s[16:17], -v[48:49]
	v_fma_f64 v[46:47], v[46:47], s[16:17], -v[50:51]
	v_fma_f64 v[48:49], v[24:25], s[24:25], v[32:33]
	v_fma_f64 v[50:51], v[26:27], s[24:25], v[34:35]
	;; [unrolled: 1-line block ×6, first 2 shown]
	v_add_f64 v[112:113], v[28:29], v[40:41]
	v_add_f64 v[114:115], v[30:31], v[42:43]
	;; [unrolled: 1-line block ×7, first 2 shown]
	v_add_f64 v[26:27], v[114:115], -v[48:49]
	v_add_f64 v[28:29], v[110:111], v[52:53]
	v_add_f64 v[30:31], v[54:55], -v[108:109]
	v_add_f64 v[32:33], v[36:37], -v[106:107]
	v_add_f64 v[34:35], v[104:105], v[38:39]
	v_add_f64 v[36:37], v[106:107], v[36:37]
	v_add_f64 v[38:39], v[38:39], -v[104:105]
	v_add_f64 v[40:41], v[52:53], -v[110:111]
	v_add_f64 v[42:43], v[108:109], v[54:55]
	v_add_f64 v[44:45], v[112:113], -v[50:51]
	v_add_f64 v[46:47], v[48:49], v[114:115]
	ds_write_b128 v139, v[20:23]
	ds_write_b128 v139, v[24:27] offset:80
	ds_write_b128 v139, v[28:31] offset:160
	;; [unrolled: 1-line block ×6, first 2 shown]
	s_waitcnt lgkmcnt(0)
	s_barrier
	buffer_gl0_inv
	ds_read_b128 v[20:23], v133 offset:3920
	ds_read_b128 v[24:27], v133 offset:7840
	;; [unrolled: 1-line block ×6, first 2 shown]
	s_waitcnt lgkmcnt(5)
	v_mul_f64 v[44:45], v[62:63], v[22:23]
	v_mul_f64 v[46:47], v[62:63], v[20:21]
	s_waitcnt lgkmcnt(4)
	v_mul_f64 v[48:49], v[58:59], v[26:27]
	v_mul_f64 v[50:51], v[58:59], v[24:25]
	s_waitcnt lgkmcnt(3)
	v_mul_f64 v[52:53], v[66:67], v[30:31]
	v_mul_f64 v[54:55], v[66:67], v[28:29]
	s_waitcnt lgkmcnt(2)
	v_mul_f64 v[58:59], v[78:79], v[34:35]
	v_mul_f64 v[62:63], v[78:79], v[32:33]
	s_waitcnt lgkmcnt(1)
	v_mul_f64 v[66:67], v[74:75], v[38:39]
	v_mul_f64 v[74:75], v[74:75], v[36:37]
	s_waitcnt lgkmcnt(0)
	v_mul_f64 v[78:79], v[70:71], v[42:43]
	v_mul_f64 v[70:71], v[70:71], v[40:41]
	v_fma_f64 v[20:21], v[60:61], v[20:21], v[44:45]
	v_fma_f64 v[22:23], v[60:61], v[22:23], -v[46:47]
	v_fma_f64 v[24:25], v[56:57], v[24:25], v[48:49]
	v_fma_f64 v[26:27], v[56:57], v[26:27], -v[50:51]
	;; [unrolled: 2-line block ×6, first 2 shown]
	v_add_f64 v[44:45], v[20:21], v[28:29]
	v_add_f64 v[46:47], v[22:23], v[30:31]
	;; [unrolled: 1-line block ×4, first 2 shown]
	v_add_f64 v[24:25], v[24:25], -v[32:33]
	v_add_f64 v[26:27], v[26:27], -v[34:35]
	v_add_f64 v[32:33], v[36:37], v[40:41]
	v_add_f64 v[34:35], v[38:39], v[42:43]
	v_add_f64 v[36:37], v[40:41], -v[36:37]
	v_add_f64 v[38:39], v[42:43], -v[38:39]
	;; [unrolled: 1-line block ×4, first 2 shown]
	v_add_f64 v[20:21], v[48:49], v[44:45]
	v_add_f64 v[22:23], v[50:51], v[46:47]
	v_add_f64 v[40:41], v[44:45], -v[32:33]
	v_add_f64 v[42:43], v[46:47], -v[34:35]
	;; [unrolled: 1-line block ×6, first 2 shown]
	v_add_f64 v[24:25], v[36:37], v[24:25]
	v_add_f64 v[26:27], v[38:39], v[26:27]
	v_add_f64 v[36:37], v[28:29], -v[36:37]
	v_add_f64 v[38:39], v[30:31], -v[38:39]
	;; [unrolled: 1-line block ×4, first 2 shown]
	v_add_f64 v[60:61], v[32:33], v[20:21]
	v_add_f64 v[62:63], v[34:35], v[22:23]
	ds_read_b128 v[20:23], v133
	v_add_f64 v[32:33], v[32:33], -v[48:49]
	v_add_f64 v[34:35], v[34:35], -v[50:51]
	v_mul_f64 v[40:41], v[40:41], s[4:5]
	v_mul_f64 v[42:43], v[42:43], s[4:5]
	;; [unrolled: 1-line block ×6, first 2 shown]
	v_add_f64 v[24:25], v[24:25], v[28:29]
	v_add_f64 v[26:27], v[26:27], v[30:31]
	s_waitcnt lgkmcnt(0)
	s_barrier
	buffer_gl0_inv
	v_add_f64 v[20:21], v[20:21], v[60:61]
	v_add_f64 v[22:23], v[22:23], v[62:63]
	v_mul_f64 v[48:49], v[32:33], s[0:1]
	v_mul_f64 v[50:51], v[34:35], s[0:1]
	v_fma_f64 v[28:29], v[32:33], s[0:1], v[40:41]
	v_fma_f64 v[30:31], v[34:35], s[0:1], v[42:43]
	;; [unrolled: 1-line block ×4, first 2 shown]
	v_fma_f64 v[52:53], v[56:57], s[6:7], -v[52:53]
	v_fma_f64 v[54:55], v[58:59], s[6:7], -v[54:55]
	;; [unrolled: 1-line block ×6, first 2 shown]
	v_fma_f64 v[56:57], v[60:61], s[12:13], v[20:21]
	v_fma_f64 v[58:59], v[62:63], s[12:13], v[22:23]
	v_fma_f64 v[44:45], v[44:45], s[16:17], -v[48:49]
	v_fma_f64 v[46:47], v[46:47], s[16:17], -v[50:51]
	v_fma_f64 v[48:49], v[24:25], s[24:25], v[32:33]
	v_fma_f64 v[50:51], v[26:27], s[24:25], v[34:35]
	;; [unrolled: 1-line block ×6, first 2 shown]
	v_add_f64 v[64:65], v[28:29], v[56:57]
	v_add_f64 v[66:67], v[30:31], v[58:59]
	;; [unrolled: 1-line block ×7, first 2 shown]
	v_add_f64 v[26:27], v[66:67], -v[48:49]
	v_add_f64 v[28:29], v[62:63], v[40:41]
	v_add_f64 v[30:31], v[42:43], -v[60:61]
	v_add_f64 v[32:33], v[36:37], -v[54:55]
	v_add_f64 v[34:35], v[52:53], v[38:39]
	v_add_f64 v[36:37], v[54:55], v[36:37]
	v_add_f64 v[38:39], v[38:39], -v[52:53]
	v_add_f64 v[40:41], v[40:41], -v[62:63]
	v_add_f64 v[42:43], v[60:61], v[42:43]
	v_add_f64 v[44:45], v[64:65], -v[50:51]
	v_add_f64 v[46:47], v[48:49], v[66:67]
	ds_write_b128 v140, v[20:23]
	ds_write_b128 v140, v[24:27] offset:560
	ds_write_b128 v140, v[28:31] offset:1120
	;; [unrolled: 1-line block ×6, first 2 shown]
	s_waitcnt lgkmcnt(0)
	s_barrier
	buffer_gl0_inv
	ds_read_b128 v[20:23], v133 offset:3920
	ds_read_b128 v[24:27], v133 offset:7840
	;; [unrolled: 1-line block ×6, first 2 shown]
	s_waitcnt lgkmcnt(5)
	v_mul_f64 v[44:45], v[86:87], v[22:23]
	v_mul_f64 v[46:47], v[86:87], v[20:21]
	s_waitcnt lgkmcnt(4)
	v_mul_f64 v[48:49], v[82:83], v[26:27]
	v_mul_f64 v[50:51], v[82:83], v[24:25]
	;; [unrolled: 3-line block ×6, first 2 shown]
	v_fma_f64 v[20:21], v[84:85], v[20:21], v[44:45]
	v_fma_f64 v[22:23], v[84:85], v[22:23], -v[46:47]
	v_fma_f64 v[24:25], v[80:81], v[24:25], v[48:49]
	v_fma_f64 v[26:27], v[80:81], v[26:27], -v[50:51]
	;; [unrolled: 2-line block ×6, first 2 shown]
	v_add_f64 v[44:45], v[20:21], v[28:29]
	v_add_f64 v[46:47], v[22:23], v[30:31]
	;; [unrolled: 1-line block ×4, first 2 shown]
	v_add_f64 v[24:25], v[24:25], -v[32:33]
	v_add_f64 v[26:27], v[26:27], -v[34:35]
	v_add_f64 v[32:33], v[36:37], v[40:41]
	v_add_f64 v[34:35], v[38:39], v[42:43]
	v_add_f64 v[36:37], v[40:41], -v[36:37]
	v_add_f64 v[38:39], v[42:43], -v[38:39]
	v_add_f64 v[28:29], v[20:21], -v[28:29]
	v_add_f64 v[30:31], v[22:23], -v[30:31]
	v_add_f64 v[20:21], v[48:49], v[44:45]
	v_add_f64 v[22:23], v[50:51], v[46:47]
	v_add_f64 v[40:41], v[44:45], -v[32:33]
	v_add_f64 v[42:43], v[46:47], -v[34:35]
	;; [unrolled: 1-line block ×6, first 2 shown]
	v_add_f64 v[24:25], v[36:37], v[24:25]
	v_add_f64 v[26:27], v[38:39], v[26:27]
	v_add_f64 v[36:37], v[28:29], -v[36:37]
	v_add_f64 v[38:39], v[30:31], -v[38:39]
	;; [unrolled: 1-line block ×4, first 2 shown]
	v_add_f64 v[60:61], v[32:33], v[20:21]
	v_add_f64 v[62:63], v[34:35], v[22:23]
	ds_read_b128 v[20:23], v133
	v_add_f64 v[32:33], v[32:33], -v[48:49]
	v_add_f64 v[34:35], v[34:35], -v[50:51]
	v_mul_f64 v[40:41], v[40:41], s[4:5]
	v_mul_f64 v[42:43], v[42:43], s[4:5]
	;; [unrolled: 1-line block ×6, first 2 shown]
	v_add_f64 v[24:25], v[24:25], v[28:29]
	v_add_f64 v[26:27], v[26:27], v[30:31]
	s_mov_b32 s4, 0xde1d8e4
	s_mov_b32 s5, 0x3f431b51
	s_waitcnt lgkmcnt(0)
	v_add_f64 v[20:21], v[20:21], v[60:61]
	v_add_f64 v[22:23], v[22:23], v[62:63]
	v_mul_f64 v[48:49], v[32:33], s[0:1]
	v_mul_f64 v[50:51], v[34:35], s[0:1]
	v_fma_f64 v[28:29], v[32:33], s[0:1], v[40:41]
	v_fma_f64 v[30:31], v[34:35], s[0:1], v[42:43]
	;; [unrolled: 1-line block ×4, first 2 shown]
	v_fma_f64 v[52:53], v[56:57], s[6:7], -v[52:53]
	v_fma_f64 v[54:55], v[58:59], s[6:7], -v[54:55]
	;; [unrolled: 1-line block ×6, first 2 shown]
	s_mul_i32 s0, s9, 0x157
	s_mul_hi_u32 s1, s8, 0x157
	s_mul_i32 s6, s8, 0x157
	s_add_i32 s7, s1, s0
	v_fma_f64 v[56:57], v[60:61], s[12:13], v[20:21]
	v_fma_f64 v[58:59], v[62:63], s[12:13], v[22:23]
	v_fma_f64 v[44:45], v[44:45], s[16:17], -v[48:49]
	v_fma_f64 v[46:47], v[46:47], s[16:17], -v[50:51]
	v_fma_f64 v[48:49], v[24:25], s[24:25], v[32:33]
	v_fma_f64 v[50:51], v[26:27], s[24:25], v[34:35]
	;; [unrolled: 1-line block ×6, first 2 shown]
	v_add_f64 v[64:65], v[28:29], v[56:57]
	v_add_f64 v[66:67], v[30:31], v[58:59]
	;; [unrolled: 1-line block ×7, first 2 shown]
	v_add_f64 v[26:27], v[66:67], -v[48:49]
	v_add_f64 v[28:29], v[62:63], v[40:41]
	v_add_f64 v[30:31], v[42:43], -v[60:61]
	v_add_f64 v[32:33], v[36:37], -v[54:55]
	v_add_f64 v[34:35], v[52:53], v[38:39]
	v_add_f64 v[36:37], v[54:55], v[36:37]
	v_add_f64 v[38:39], v[38:39], -v[52:53]
	v_add_f64 v[40:41], v[40:41], -v[62:63]
	v_add_f64 v[42:43], v[60:61], v[42:43]
	v_add_f64 v[44:45], v[64:65], -v[50:51]
	v_add_f64 v[46:47], v[48:49], v[66:67]
	ds_write_b128 v133, v[20:23]
	ds_write_b128 v133, v[24:27] offset:3920
	ds_write_b128 v133, v[28:31] offset:7840
	;; [unrolled: 1-line block ×6, first 2 shown]
	s_waitcnt lgkmcnt(0)
	s_barrier
	buffer_gl0_inv
	ds_read_b128 v[20:23], v133
	ds_read_b128 v[24:27], v133 offset:5488
	ds_read_b128 v[28:31], v133 offset:10976
	;; [unrolled: 1-line block ×4, first 2 shown]
	v_mad_u64_u32 v[40:41], null, s10, v132, 0
	v_mad_u64_u32 v[42:43], null, s8, v136, 0
	;; [unrolled: 1-line block ×3, first 2 shown]
	s_waitcnt lgkmcnt(4)
	v_mul_f64 v[45:46], v[2:3], v[22:23]
	v_mul_f64 v[2:3], v[2:3], v[20:21]
	s_waitcnt lgkmcnt(3)
	v_mul_f64 v[47:48], v[6:7], v[26:27]
	v_mul_f64 v[6:7], v[6:7], v[24:25]
	;; [unrolled: 3-line block ×5, first 2 shown]
	v_mad_u64_u32 v[55:56], null, s9, v136, v[43:44]
	v_mov_b32_e32 v41, v44
	v_lshlrev_b64 v[40:41], 4, v[40:41]
	v_mov_b32_e32 v43, v55
	v_fma_f64 v[20:21], v[0:1], v[20:21], v[45:46]
	v_fma_f64 v[0:1], v[0:1], v[22:23], -v[2:3]
	v_fma_f64 v[22:23], v[4:5], v[24:25], v[47:48]
	v_fma_f64 v[24:25], v[4:5], v[26:27], -v[6:7]
	;; [unrolled: 2-line block ×5, first 2 shown]
	v_lshlrev_b64 v[2:3], 4, v[42:43]
	v_add_co_u32 v4, s0, s2, v40
	v_add_co_ci_u32_e64 v5, s0, s3, v41, s0
	s_lshl_b64 s[2:3], s[6:7], 4
	v_add_co_u32 v38, s0, v4, v2
	v_add_co_ci_u32_e64 v39, s0, v5, v3, s0
	v_mul_f64 v[2:3], v[20:21], s[4:5]
	v_mul_f64 v[4:5], v[0:1], s[4:5]
	;; [unrolled: 1-line block ×3, first 2 shown]
	v_add_co_u32 v22, s0, v38, s2
	v_mul_f64 v[8:9], v[24:25], s[4:5]
	v_mul_f64 v[10:11], v[26:27], s[4:5]
	;; [unrolled: 1-line block ×3, first 2 shown]
	v_add_co_ci_u32_e64 v23, s0, s3, v39, s0
	v_mul_f64 v[14:15], v[30:31], s[4:5]
	v_mul_f64 v[16:17], v[32:33], s[4:5]
	v_mul_f64 v[18:19], v[34:35], s[4:5]
	v_mul_f64 v[20:21], v[36:37], s[4:5]
	v_add_co_u32 v24, s0, v22, s2
	v_add_co_ci_u32_e64 v25, s0, s3, v23, s0
	v_add_co_u32 v26, s0, v24, s2
	v_add_co_ci_u32_e64 v27, s0, s3, v25, s0
	;; [unrolled: 2-line block ×3, first 2 shown]
	global_store_dwordx4 v[38:39], v[2:5], off
	global_store_dwordx4 v[22:23], v[6:9], off
	;; [unrolled: 1-line block ×5, first 2 shown]
	s_and_b32 exec_lo, exec_lo, vcc_lo
	s_cbranch_execz .LBB0_15
; %bb.14:
	v_add_co_u32 v2, vcc_lo, 0x800, v134
	v_add_co_ci_u32_e32 v3, vcc_lo, 0, v135, vcc_lo
	v_add_co_u32 v6, vcc_lo, 0x2000, v134
	v_add_co_ci_u32_e32 v7, vcc_lo, 0, v135, vcc_lo
	;; [unrolled: 2-line block ×4, first 2 shown]
	v_add_co_u32 v18, vcc_lo, 0x6000, v134
	s_clause 0x1
	global_load_dwordx4 v[2:5], v[2:3], off offset:1872
	global_load_dwordx4 v[6:9], v[6:7], off offset:1216
	v_add_co_ci_u32_e32 v19, vcc_lo, 0, v135, vcc_lo
	s_clause 0x2
	global_load_dwordx4 v[10:13], v[10:11], off offset:560
	global_load_dwordx4 v[14:17], v[14:15], off offset:1952
	;; [unrolled: 1-line block ×3, first 2 shown]
	ds_read_b128 v[22:25], v133 offset:3920
	ds_read_b128 v[26:29], v133 offset:9408
	;; [unrolled: 1-line block ×5, first 2 shown]
	s_mul_i32 s0, s9, 0xffffb990
	s_sub_i32 s0, s0, s8
	s_waitcnt vmcnt(4) lgkmcnt(4)
	v_mul_f64 v[42:43], v[24:25], v[4:5]
	v_mul_f64 v[4:5], v[22:23], v[4:5]
	s_waitcnt vmcnt(3) lgkmcnt(3)
	v_mul_f64 v[44:45], v[28:29], v[8:9]
	v_mul_f64 v[8:9], v[26:27], v[8:9]
	;; [unrolled: 3-line block ×5, first 2 shown]
	v_fma_f64 v[22:23], v[22:23], v[2:3], v[42:43]
	v_fma_f64 v[2:3], v[2:3], v[24:25], -v[4:5]
	v_fma_f64 v[4:5], v[26:27], v[6:7], v[44:45]
	v_fma_f64 v[6:7], v[6:7], v[28:29], -v[8:9]
	;; [unrolled: 2-line block ×5, first 2 shown]
	v_mad_u64_u32 v[20:21], null, 0xffffb990, s8, v[0:1]
	v_add_nc_u32_e32 v21, s0, v21
	v_mul_f64 v[0:1], v[22:23], s[4:5]
	v_mul_f64 v[2:3], v[2:3], s[4:5]
	;; [unrolled: 1-line block ×10, first 2 shown]
	v_add_co_u32 v22, vcc_lo, v20, s2
	v_add_co_ci_u32_e32 v23, vcc_lo, s3, v21, vcc_lo
	v_add_co_u32 v24, vcc_lo, v22, s2
	v_add_co_ci_u32_e32 v25, vcc_lo, s3, v23, vcc_lo
	v_add_co_u32 v26, vcc_lo, v24, s2
	v_add_co_ci_u32_e32 v27, vcc_lo, s3, v25, vcc_lo
	v_add_co_u32 v28, vcc_lo, v26, s2
	v_add_co_ci_u32_e32 v29, vcc_lo, s3, v27, vcc_lo
	global_store_dwordx4 v[20:21], v[0:3], off
	global_store_dwordx4 v[22:23], v[4:7], off
	;; [unrolled: 1-line block ×5, first 2 shown]
.LBB0_15:
	s_endpgm
	.section	.rodata,"a",@progbits
	.p2align	6, 0x0
	.amdhsa_kernel bluestein_single_fwd_len1715_dim1_dp_op_CI_CI
		.amdhsa_group_segment_fixed_size 27440
		.amdhsa_private_segment_fixed_size 0
		.amdhsa_kernarg_size 104
		.amdhsa_user_sgpr_count 6
		.amdhsa_user_sgpr_private_segment_buffer 1
		.amdhsa_user_sgpr_dispatch_ptr 0
		.amdhsa_user_sgpr_queue_ptr 0
		.amdhsa_user_sgpr_kernarg_segment_ptr 1
		.amdhsa_user_sgpr_dispatch_id 0
		.amdhsa_user_sgpr_flat_scratch_init 0
		.amdhsa_user_sgpr_private_segment_size 0
		.amdhsa_wavefront_size32 1
		.amdhsa_uses_dynamic_stack 0
		.amdhsa_system_sgpr_private_segment_wavefront_offset 0
		.amdhsa_system_sgpr_workgroup_id_x 1
		.amdhsa_system_sgpr_workgroup_id_y 0
		.amdhsa_system_sgpr_workgroup_id_z 0
		.amdhsa_system_sgpr_workgroup_info 0
		.amdhsa_system_vgpr_workitem_id 0
		.amdhsa_next_free_vgpr 173
		.amdhsa_next_free_sgpr 28
		.amdhsa_reserve_vcc 1
		.amdhsa_reserve_flat_scratch 0
		.amdhsa_float_round_mode_32 0
		.amdhsa_float_round_mode_16_64 0
		.amdhsa_float_denorm_mode_32 3
		.amdhsa_float_denorm_mode_16_64 3
		.amdhsa_dx10_clamp 1
		.amdhsa_ieee_mode 1
		.amdhsa_fp16_overflow 0
		.amdhsa_workgroup_processor_mode 1
		.amdhsa_memory_ordered 1
		.amdhsa_forward_progress 0
		.amdhsa_shared_vgpr_count 0
		.amdhsa_exception_fp_ieee_invalid_op 0
		.amdhsa_exception_fp_denorm_src 0
		.amdhsa_exception_fp_ieee_div_zero 0
		.amdhsa_exception_fp_ieee_overflow 0
		.amdhsa_exception_fp_ieee_underflow 0
		.amdhsa_exception_fp_ieee_inexact 0
		.amdhsa_exception_int_div_zero 0
	.end_amdhsa_kernel
	.text
.Lfunc_end0:
	.size	bluestein_single_fwd_len1715_dim1_dp_op_CI_CI, .Lfunc_end0-bluestein_single_fwd_len1715_dim1_dp_op_CI_CI
                                        ; -- End function
	.section	.AMDGPU.csdata,"",@progbits
; Kernel info:
; codeLenInByte = 12264
; NumSgprs: 30
; NumVgprs: 173
; ScratchSize: 0
; MemoryBound: 0
; FloatMode: 240
; IeeeMode: 1
; LDSByteSize: 27440 bytes/workgroup (compile time only)
; SGPRBlocks: 3
; VGPRBlocks: 21
; NumSGPRsForWavesPerEU: 30
; NumVGPRsForWavesPerEU: 173
; Occupancy: 5
; WaveLimiterHint : 1
; COMPUTE_PGM_RSRC2:SCRATCH_EN: 0
; COMPUTE_PGM_RSRC2:USER_SGPR: 6
; COMPUTE_PGM_RSRC2:TRAP_HANDLER: 0
; COMPUTE_PGM_RSRC2:TGID_X_EN: 1
; COMPUTE_PGM_RSRC2:TGID_Y_EN: 0
; COMPUTE_PGM_RSRC2:TGID_Z_EN: 0
; COMPUTE_PGM_RSRC2:TIDIG_COMP_CNT: 0
	.text
	.p2alignl 6, 3214868480
	.fill 48, 4, 3214868480
	.type	__hip_cuid_1da24e33a6fc2dcb,@object ; @__hip_cuid_1da24e33a6fc2dcb
	.section	.bss,"aw",@nobits
	.globl	__hip_cuid_1da24e33a6fc2dcb
__hip_cuid_1da24e33a6fc2dcb:
	.byte	0                               ; 0x0
	.size	__hip_cuid_1da24e33a6fc2dcb, 1

	.ident	"AMD clang version 19.0.0git (https://github.com/RadeonOpenCompute/llvm-project roc-6.4.0 25133 c7fe45cf4b819c5991fe208aaa96edf142730f1d)"
	.section	".note.GNU-stack","",@progbits
	.addrsig
	.addrsig_sym __hip_cuid_1da24e33a6fc2dcb
	.amdgpu_metadata
---
amdhsa.kernels:
  - .args:
      - .actual_access:  read_only
        .address_space:  global
        .offset:         0
        .size:           8
        .value_kind:     global_buffer
      - .actual_access:  read_only
        .address_space:  global
        .offset:         8
        .size:           8
        .value_kind:     global_buffer
      - .actual_access:  read_only
        .address_space:  global
        .offset:         16
        .size:           8
        .value_kind:     global_buffer
      - .actual_access:  read_only
        .address_space:  global
        .offset:         24
        .size:           8
        .value_kind:     global_buffer
      - .actual_access:  read_only
        .address_space:  global
        .offset:         32
        .size:           8
        .value_kind:     global_buffer
      - .offset:         40
        .size:           8
        .value_kind:     by_value
      - .address_space:  global
        .offset:         48
        .size:           8
        .value_kind:     global_buffer
      - .address_space:  global
        .offset:         56
        .size:           8
        .value_kind:     global_buffer
      - .address_space:  global
        .offset:         64
        .size:           8
        .value_kind:     global_buffer
      - .address_space:  global
        .offset:         72
        .size:           8
        .value_kind:     global_buffer
      - .offset:         80
        .size:           4
        .value_kind:     by_value
      - .address_space:  global
        .offset:         88
        .size:           8
        .value_kind:     global_buffer
      - .address_space:  global
        .offset:         96
        .size:           8
        .value_kind:     global_buffer
    .group_segment_fixed_size: 27440
    .kernarg_segment_align: 8
    .kernarg_segment_size: 104
    .language:       OpenCL C
    .language_version:
      - 2
      - 0
    .max_flat_workgroup_size: 245
    .name:           bluestein_single_fwd_len1715_dim1_dp_op_CI_CI
    .private_segment_fixed_size: 0
    .sgpr_count:     30
    .sgpr_spill_count: 0
    .symbol:         bluestein_single_fwd_len1715_dim1_dp_op_CI_CI.kd
    .uniform_work_group_size: 1
    .uses_dynamic_stack: false
    .vgpr_count:     173
    .vgpr_spill_count: 0
    .wavefront_size: 32
    .workgroup_processor_mode: 1
amdhsa.target:   amdgcn-amd-amdhsa--gfx1030
amdhsa.version:
  - 1
  - 2
...

	.end_amdgpu_metadata
